;; amdgpu-corpus repo=ROCm/rocFFT kind=compiled arch=gfx1201 opt=O3
	.text
	.amdgcn_target "amdgcn-amd-amdhsa--gfx1201"
	.amdhsa_code_object_version 6
	.protected	fft_rtc_back_len672_factors_2_2_2_2_2_3_7_wgs_56_tpt_56_halfLds_dp_ip_CI_sbrr_dirReg ; -- Begin function fft_rtc_back_len672_factors_2_2_2_2_2_3_7_wgs_56_tpt_56_halfLds_dp_ip_CI_sbrr_dirReg
	.globl	fft_rtc_back_len672_factors_2_2_2_2_2_3_7_wgs_56_tpt_56_halfLds_dp_ip_CI_sbrr_dirReg
	.p2align	8
	.type	fft_rtc_back_len672_factors_2_2_2_2_2_3_7_wgs_56_tpt_56_halfLds_dp_ip_CI_sbrr_dirReg,@function
fft_rtc_back_len672_factors_2_2_2_2_2_3_7_wgs_56_tpt_56_halfLds_dp_ip_CI_sbrr_dirReg: ; @fft_rtc_back_len672_factors_2_2_2_2_2_3_7_wgs_56_tpt_56_halfLds_dp_ip_CI_sbrr_dirReg
; %bb.0:
	s_clause 0x2
	s_load_b64 s[12:13], s[0:1], 0x18
	s_load_b128 s[8:11], s[0:1], 0x0
	s_load_b64 s[4:5], s[0:1], 0x50
	v_mul_u32_u24_e32 v1, 0x493, v0
	v_mov_b32_e32 v3, 0
	s_delay_alu instid0(VALU_DEP_2) | instskip(NEXT) | instid1(VALU_DEP_1)
	v_lshrrev_b32_e32 v1, 16, v1
	v_add_nc_u32_e32 v5, ttmp9, v1
	v_mov_b32_e32 v1, 0
	v_mov_b32_e32 v2, 0
	;; [unrolled: 1-line block ×3, first 2 shown]
	s_wait_kmcnt 0x0
	s_load_b64 s[6:7], s[12:13], 0x0
	v_cmp_lt_u64_e64 s2, s[10:11], 2
	s_delay_alu instid0(VALU_DEP_1)
	s_and_b32 vcc_lo, exec_lo, s2
	s_cbranch_vccnz .LBB0_8
; %bb.1:
	s_load_b64 s[2:3], s[0:1], 0x10
	v_mov_b32_e32 v1, 0
	v_mov_b32_e32 v2, 0
	s_add_nc_u64 s[14:15], s[12:13], 8
	s_mov_b64 s[16:17], 1
	s_wait_kmcnt 0x0
	s_add_nc_u64 s[18:19], s[2:3], 8
	s_mov_b32 s3, 0
.LBB0_2:                                ; =>This Inner Loop Header: Depth=1
	s_load_b64 s[20:21], s[18:19], 0x0
                                        ; implicit-def: $vgpr7_vgpr8
	s_mov_b32 s2, exec_lo
	s_wait_kmcnt 0x0
	v_or_b32_e32 v4, s21, v6
	s_delay_alu instid0(VALU_DEP_1)
	v_cmpx_ne_u64_e32 0, v[3:4]
	s_wait_alu 0xfffe
	s_xor_b32 s22, exec_lo, s2
	s_cbranch_execz .LBB0_4
; %bb.3:                                ;   in Loop: Header=BB0_2 Depth=1
	s_cvt_f32_u32 s2, s20
	s_cvt_f32_u32 s23, s21
	s_sub_nc_u64 s[26:27], 0, s[20:21]
	s_wait_alu 0xfffe
	s_delay_alu instid0(SALU_CYCLE_1) | instskip(SKIP_1) | instid1(SALU_CYCLE_2)
	s_fmamk_f32 s2, s23, 0x4f800000, s2
	s_wait_alu 0xfffe
	v_s_rcp_f32 s2, s2
	s_delay_alu instid0(TRANS32_DEP_1) | instskip(SKIP_1) | instid1(SALU_CYCLE_2)
	s_mul_f32 s2, s2, 0x5f7ffffc
	s_wait_alu 0xfffe
	s_mul_f32 s23, s2, 0x2f800000
	s_wait_alu 0xfffe
	s_delay_alu instid0(SALU_CYCLE_2) | instskip(SKIP_1) | instid1(SALU_CYCLE_2)
	s_trunc_f32 s23, s23
	s_wait_alu 0xfffe
	s_fmamk_f32 s2, s23, 0xcf800000, s2
	s_cvt_u32_f32 s25, s23
	s_wait_alu 0xfffe
	s_delay_alu instid0(SALU_CYCLE_1) | instskip(SKIP_1) | instid1(SALU_CYCLE_2)
	s_cvt_u32_f32 s24, s2
	s_wait_alu 0xfffe
	s_mul_u64 s[28:29], s[26:27], s[24:25]
	s_wait_alu 0xfffe
	s_mul_hi_u32 s31, s24, s29
	s_mul_i32 s30, s24, s29
	s_mul_hi_u32 s2, s24, s28
	s_mul_i32 s33, s25, s28
	s_wait_alu 0xfffe
	s_add_nc_u64 s[30:31], s[2:3], s[30:31]
	s_mul_hi_u32 s23, s25, s28
	s_mul_hi_u32 s34, s25, s29
	s_add_co_u32 s2, s30, s33
	s_wait_alu 0xfffe
	s_add_co_ci_u32 s2, s31, s23
	s_mul_i32 s28, s25, s29
	s_add_co_ci_u32 s29, s34, 0
	s_wait_alu 0xfffe
	s_add_nc_u64 s[28:29], s[2:3], s[28:29]
	s_wait_alu 0xfffe
	v_add_co_u32 v4, s2, s24, s28
	s_delay_alu instid0(VALU_DEP_1) | instskip(SKIP_1) | instid1(VALU_DEP_1)
	s_cmp_lg_u32 s2, 0
	s_add_co_ci_u32 s25, s25, s29
	v_readfirstlane_b32 s24, v4
	s_wait_alu 0xfffe
	s_delay_alu instid0(VALU_DEP_1)
	s_mul_u64 s[26:27], s[26:27], s[24:25]
	s_wait_alu 0xfffe
	s_mul_hi_u32 s29, s24, s27
	s_mul_i32 s28, s24, s27
	s_mul_hi_u32 s2, s24, s26
	s_mul_i32 s30, s25, s26
	s_wait_alu 0xfffe
	s_add_nc_u64 s[28:29], s[2:3], s[28:29]
	s_mul_hi_u32 s23, s25, s26
	s_mul_hi_u32 s24, s25, s27
	s_wait_alu 0xfffe
	s_add_co_u32 s2, s28, s30
	s_add_co_ci_u32 s2, s29, s23
	s_mul_i32 s26, s25, s27
	s_add_co_ci_u32 s27, s24, 0
	s_wait_alu 0xfffe
	s_add_nc_u64 s[26:27], s[2:3], s[26:27]
	s_wait_alu 0xfffe
	v_add_co_u32 v4, s2, v4, s26
	s_delay_alu instid0(VALU_DEP_1) | instskip(SKIP_1) | instid1(VALU_DEP_1)
	s_cmp_lg_u32 s2, 0
	s_add_co_ci_u32 s2, s25, s27
	v_mul_hi_u32 v13, v5, v4
	s_wait_alu 0xfffe
	v_mad_co_u64_u32 v[7:8], null, v5, s2, 0
	v_mad_co_u64_u32 v[9:10], null, v6, v4, 0
	;; [unrolled: 1-line block ×3, first 2 shown]
	s_delay_alu instid0(VALU_DEP_3) | instskip(SKIP_1) | instid1(VALU_DEP_4)
	v_add_co_u32 v4, vcc_lo, v13, v7
	s_wait_alu 0xfffd
	v_add_co_ci_u32_e32 v7, vcc_lo, 0, v8, vcc_lo
	s_delay_alu instid0(VALU_DEP_2) | instskip(SKIP_1) | instid1(VALU_DEP_2)
	v_add_co_u32 v4, vcc_lo, v4, v9
	s_wait_alu 0xfffd
	v_add_co_ci_u32_e32 v4, vcc_lo, v7, v10, vcc_lo
	s_wait_alu 0xfffd
	v_add_co_ci_u32_e32 v7, vcc_lo, 0, v12, vcc_lo
	s_delay_alu instid0(VALU_DEP_2) | instskip(SKIP_1) | instid1(VALU_DEP_2)
	v_add_co_u32 v4, vcc_lo, v4, v11
	s_wait_alu 0xfffd
	v_add_co_ci_u32_e32 v9, vcc_lo, 0, v7, vcc_lo
	s_delay_alu instid0(VALU_DEP_2) | instskip(SKIP_1) | instid1(VALU_DEP_3)
	v_mul_lo_u32 v10, s21, v4
	v_mad_co_u64_u32 v[7:8], null, s20, v4, 0
	v_mul_lo_u32 v11, s20, v9
	s_delay_alu instid0(VALU_DEP_2) | instskip(NEXT) | instid1(VALU_DEP_2)
	v_sub_co_u32 v7, vcc_lo, v5, v7
	v_add3_u32 v8, v8, v11, v10
	s_delay_alu instid0(VALU_DEP_1) | instskip(SKIP_1) | instid1(VALU_DEP_1)
	v_sub_nc_u32_e32 v10, v6, v8
	s_wait_alu 0xfffd
	v_subrev_co_ci_u32_e64 v10, s2, s21, v10, vcc_lo
	v_add_co_u32 v11, s2, v4, 2
	s_wait_alu 0xf1ff
	v_add_co_ci_u32_e64 v12, s2, 0, v9, s2
	v_sub_co_u32 v13, s2, v7, s20
	v_sub_co_ci_u32_e32 v8, vcc_lo, v6, v8, vcc_lo
	s_wait_alu 0xf1ff
	v_subrev_co_ci_u32_e64 v10, s2, 0, v10, s2
	s_delay_alu instid0(VALU_DEP_3) | instskip(NEXT) | instid1(VALU_DEP_3)
	v_cmp_le_u32_e32 vcc_lo, s20, v13
	v_cmp_eq_u32_e64 s2, s21, v8
	s_wait_alu 0xfffd
	v_cndmask_b32_e64 v13, 0, -1, vcc_lo
	v_cmp_le_u32_e32 vcc_lo, s21, v10
	s_wait_alu 0xfffd
	v_cndmask_b32_e64 v14, 0, -1, vcc_lo
	v_cmp_le_u32_e32 vcc_lo, s20, v7
	;; [unrolled: 3-line block ×3, first 2 shown]
	s_wait_alu 0xfffd
	v_cndmask_b32_e64 v15, 0, -1, vcc_lo
	v_cmp_eq_u32_e32 vcc_lo, s21, v10
	s_wait_alu 0xf1ff
	s_delay_alu instid0(VALU_DEP_2)
	v_cndmask_b32_e64 v7, v15, v7, s2
	s_wait_alu 0xfffd
	v_cndmask_b32_e32 v10, v14, v13, vcc_lo
	v_add_co_u32 v13, vcc_lo, v4, 1
	s_wait_alu 0xfffd
	v_add_co_ci_u32_e32 v14, vcc_lo, 0, v9, vcc_lo
	s_delay_alu instid0(VALU_DEP_3) | instskip(SKIP_2) | instid1(VALU_DEP_3)
	v_cmp_ne_u32_e32 vcc_lo, 0, v10
	s_wait_alu 0xfffd
	v_cndmask_b32_e32 v10, v13, v11, vcc_lo
	v_cndmask_b32_e32 v8, v14, v12, vcc_lo
	v_cmp_ne_u32_e32 vcc_lo, 0, v7
	s_wait_alu 0xfffd
	s_delay_alu instid0(VALU_DEP_2)
	v_dual_cndmask_b32 v7, v4, v10 :: v_dual_cndmask_b32 v8, v9, v8
.LBB0_4:                                ;   in Loop: Header=BB0_2 Depth=1
	s_wait_alu 0xfffe
	s_and_not1_saveexec_b32 s2, s22
	s_cbranch_execz .LBB0_6
; %bb.5:                                ;   in Loop: Header=BB0_2 Depth=1
	v_cvt_f32_u32_e32 v4, s20
	s_sub_co_i32 s22, 0, s20
	s_delay_alu instid0(VALU_DEP_1) | instskip(NEXT) | instid1(TRANS32_DEP_1)
	v_rcp_iflag_f32_e32 v4, v4
	v_mul_f32_e32 v4, 0x4f7ffffe, v4
	s_delay_alu instid0(VALU_DEP_1) | instskip(SKIP_1) | instid1(VALU_DEP_1)
	v_cvt_u32_f32_e32 v4, v4
	s_wait_alu 0xfffe
	v_mul_lo_u32 v7, s22, v4
	s_delay_alu instid0(VALU_DEP_1) | instskip(NEXT) | instid1(VALU_DEP_1)
	v_mul_hi_u32 v7, v4, v7
	v_add_nc_u32_e32 v4, v4, v7
	s_delay_alu instid0(VALU_DEP_1) | instskip(NEXT) | instid1(VALU_DEP_1)
	v_mul_hi_u32 v4, v5, v4
	v_mul_lo_u32 v7, v4, s20
	v_add_nc_u32_e32 v8, 1, v4
	s_delay_alu instid0(VALU_DEP_2) | instskip(NEXT) | instid1(VALU_DEP_1)
	v_sub_nc_u32_e32 v7, v5, v7
	v_subrev_nc_u32_e32 v9, s20, v7
	v_cmp_le_u32_e32 vcc_lo, s20, v7
	s_wait_alu 0xfffd
	s_delay_alu instid0(VALU_DEP_2) | instskip(NEXT) | instid1(VALU_DEP_1)
	v_dual_cndmask_b32 v7, v7, v9 :: v_dual_cndmask_b32 v4, v4, v8
	v_cmp_le_u32_e32 vcc_lo, s20, v7
	s_delay_alu instid0(VALU_DEP_2) | instskip(SKIP_1) | instid1(VALU_DEP_1)
	v_add_nc_u32_e32 v8, 1, v4
	s_wait_alu 0xfffd
	v_dual_cndmask_b32 v7, v4, v8 :: v_dual_mov_b32 v8, v3
.LBB0_6:                                ;   in Loop: Header=BB0_2 Depth=1
	s_wait_alu 0xfffe
	s_or_b32 exec_lo, exec_lo, s2
	s_load_b64 s[22:23], s[14:15], 0x0
	s_delay_alu instid0(VALU_DEP_1)
	v_mul_lo_u32 v4, v8, s20
	v_mul_lo_u32 v11, v7, s21
	v_mad_co_u64_u32 v[9:10], null, v7, s20, 0
	s_add_nc_u64 s[16:17], s[16:17], 1
	s_add_nc_u64 s[14:15], s[14:15], 8
	s_wait_alu 0xfffe
	v_cmp_ge_u64_e64 s2, s[16:17], s[10:11]
	s_add_nc_u64 s[18:19], s[18:19], 8
	s_delay_alu instid0(VALU_DEP_2) | instskip(NEXT) | instid1(VALU_DEP_3)
	v_add3_u32 v4, v10, v11, v4
	v_sub_co_u32 v5, vcc_lo, v5, v9
	s_wait_alu 0xfffd
	s_delay_alu instid0(VALU_DEP_2) | instskip(SKIP_3) | instid1(VALU_DEP_2)
	v_sub_co_ci_u32_e32 v4, vcc_lo, v6, v4, vcc_lo
	s_and_b32 vcc_lo, exec_lo, s2
	s_wait_kmcnt 0x0
	v_mul_lo_u32 v6, s23, v5
	v_mul_lo_u32 v4, s22, v4
	v_mad_co_u64_u32 v[1:2], null, s22, v5, v[1:2]
	s_delay_alu instid0(VALU_DEP_1)
	v_add3_u32 v2, v6, v2, v4
	s_wait_alu 0xfffe
	s_cbranch_vccnz .LBB0_9
; %bb.7:                                ;   in Loop: Header=BB0_2 Depth=1
	v_dual_mov_b32 v5, v7 :: v_dual_mov_b32 v6, v8
	s_branch .LBB0_2
.LBB0_8:
	v_dual_mov_b32 v8, v6 :: v_dual_mov_b32 v7, v5
.LBB0_9:
	s_lshl_b64 s[2:3], s[10:11], 3
	v_mul_hi_u32 v3, 0x4924925, v0
	s_wait_alu 0xfffe
	s_add_nc_u64 s[2:3], s[12:13], s[2:3]
	s_load_b64 s[0:1], s[0:1], 0x20
	s_load_b64 s[2:3], s[2:3], 0x0
                                        ; implicit-def: $vgpr71
	s_delay_alu instid0(VALU_DEP_1) | instskip(NEXT) | instid1(VALU_DEP_1)
	v_mul_u32_u24_e32 v3, 56, v3
	v_sub_nc_u32_e32 v70, v0, v3
	s_delay_alu instid0(VALU_DEP_1)
	v_add_nc_u32_e32 v54, 0x70, v70
	v_add_nc_u32_e32 v55, 0xa8, v70
	;; [unrolled: 1-line block ×4, first 2 shown]
	s_wait_kmcnt 0x0
	v_cmp_gt_u64_e32 vcc_lo, s[0:1], v[7:8]
	v_mul_lo_u32 v3, s2, v8
	v_mul_lo_u32 v4, s3, v7
	v_mad_co_u64_u32 v[0:1], null, s2, v7, v[1:2]
	v_cmp_le_u64_e64 s0, s[0:1], v[7:8]
	s_delay_alu instid0(VALU_DEP_2) | instskip(NEXT) | instid1(VALU_DEP_2)
	v_add3_u32 v1, v4, v1, v3
	s_and_saveexec_b32 s1, s0
	s_wait_alu 0xfffe
	s_xor_b32 s0, exec_lo, s1
; %bb.10:
	v_add_nc_u32_e32 v71, 56, v70
	v_add_nc_u32_e32 v54, 0x70, v70
	;; [unrolled: 1-line block ×5, first 2 shown]
; %bb.11:
	s_wait_alu 0xfffe
	s_or_saveexec_b32 s1, s0
	v_lshlrev_b64_e32 v[48:49], 4, v[0:1]
                                        ; implicit-def: $vgpr38_vgpr39
                                        ; implicit-def: $vgpr22_vgpr23
                                        ; implicit-def: $vgpr42_vgpr43
                                        ; implicit-def: $vgpr26_vgpr27
                                        ; implicit-def: $vgpr46_vgpr47
                                        ; implicit-def: $vgpr30_vgpr31
                                        ; implicit-def: $vgpr34_vgpr35
                                        ; implicit-def: $vgpr10_vgpr11
                                        ; implicit-def: $vgpr14_vgpr15
                                        ; implicit-def: $vgpr2_vgpr3
                                        ; implicit-def: $vgpr18_vgpr19
                                        ; implicit-def: $vgpr6_vgpr7
	s_wait_alu 0xfffe
	s_xor_b32 exec_lo, exec_lo, s1
	s_cbranch_execz .LBB0_13
; %bb.12:
	v_add_nc_u32_e32 v8, 0x150, v70
	v_mad_co_u64_u32 v[0:1], null, s6, v70, 0
	v_add_nc_u32_e32 v10, 0x188, v70
	v_or_b32_e32 v16, 0x1c0, v70
	s_delay_alu instid0(VALU_DEP_4) | instskip(SKIP_1) | instid1(VALU_DEP_3)
	v_mad_co_u64_u32 v[2:3], null, s6, v8, 0
	v_mad_co_u64_u32 v[22:23], null, s6, v55, 0
	;; [unrolled: 1-line block ×3, first 2 shown]
	v_add_co_u32 v41, s0, s4, v48
	s_delay_alu instid0(VALU_DEP_4)
	v_mad_co_u64_u32 v[6:7], null, s7, v70, v[1:2]
	v_mov_b32_e32 v1, v3
	s_wait_alu 0xf1ff
	v_add_co_ci_u32_e64 v42, s0, s5, v49, s0
	v_add_nc_u32_e32 v29, 0x1f8, v70
	v_mad_co_u64_u32 v[36:37], null, s6, v50, 0
	v_mad_co_u64_u32 v[7:8], null, s7, v8, v[1:2]
	;; [unrolled: 1-line block ×3, first 2 shown]
	v_add_nc_u32_e32 v71, 56, v70
	v_mov_b32_e32 v1, v6
	v_mad_co_u64_u32 v[24:25], null, s6, v29, 0
	v_add_nc_u32_e32 v38, 0x230, v70
	s_delay_alu instid0(VALU_DEP_4) | instskip(NEXT) | instid1(VALU_DEP_1)
	v_mad_co_u64_u32 v[4:5], null, s6, v71, 0
	v_mov_b32_e32 v3, v5
	s_delay_alu instid0(VALU_DEP_1) | instskip(SKIP_1) | instid1(VALU_DEP_1)
	v_mad_co_u64_u32 v[5:6], null, s7, v71, v[3:4]
	v_dual_mov_b32 v6, v9 :: v_dual_mov_b32 v3, v7
	v_mad_co_u64_u32 v[6:7], null, s7, v10, v[6:7]
	v_mad_co_u64_u32 v[10:11], null, s6, v54, 0
	s_delay_alu instid0(VALU_DEP_3) | instskip(SKIP_1) | instid1(VALU_DEP_3)
	v_lshlrev_b64_e32 v[2:3], 4, v[2:3]
	v_lshlrev_b64_e32 v[4:5], 4, v[4:5]
	v_dual_mov_b32 v9, v6 :: v_dual_mov_b32 v6, v11
	v_lshlrev_b64_e32 v[0:1], 4, v[0:1]
	s_delay_alu instid0(VALU_DEP_2) | instskip(NEXT) | instid1(VALU_DEP_2)
	v_lshlrev_b64_e32 v[7:8], 4, v[8:9]
	v_add_co_u32 v0, s0, v41, v0
	s_wait_alu 0xf1ff
	s_delay_alu instid0(VALU_DEP_3)
	v_add_co_ci_u32_e64 v1, s0, v42, v1, s0
	v_add_co_u32 v2, s0, v41, v2
	s_wait_alu 0xf1ff
	v_add_co_ci_u32_e64 v3, s0, v42, v3, s0
	v_mad_co_u64_u32 v[11:12], null, s7, v54, v[6:7]
	v_add_co_u32 v12, s0, v41, v4
	v_mov_b32_e32 v4, v21
	s_wait_alu 0xf1ff
	v_add_co_ci_u32_e64 v13, s0, v42, v5, s0
	v_add_co_u32 v14, s0, v41, v7
	s_wait_alu 0xf1ff
	v_add_co_ci_u32_e64 v15, s0, v42, v8, s0
	v_mad_co_u64_u32 v[8:9], null, s7, v16, v[4:5]
	v_lshlrev_b64_e32 v[9:10], 4, v[10:11]
	s_clause 0x3
	global_load_b128 v[4:7], v[0:1], off
	global_load_b128 v[16:19], v[2:3], off
	;; [unrolled: 1-line block ×4, first 2 shown]
	v_dual_mov_b32 v21, v8 :: v_dual_mov_b32 v8, v23
	v_add_co_u32 v9, s0, v41, v9
	s_wait_alu 0xf1ff
	v_add_co_ci_u32_e64 v10, s0, v42, v10, s0
	s_delay_alu instid0(VALU_DEP_3) | instskip(NEXT) | instid1(VALU_DEP_3)
	v_lshlrev_b64_e32 v[20:21], 4, v[20:21]
	v_mad_co_u64_u32 v[26:27], null, s7, v55, v[8:9]
	v_mov_b32_e32 v8, v25
	v_mad_co_u64_u32 v[27:28], null, s6, v51, 0
	s_delay_alu instid0(VALU_DEP_4) | instskip(NEXT) | instid1(VALU_DEP_3)
	v_add_co_u32 v20, s0, v41, v20
	v_mad_co_u64_u32 v[29:30], null, s7, v29, v[8:9]
	v_mad_co_u64_u32 v[30:31], null, s6, v38, 0
	s_delay_alu instid0(VALU_DEP_4)
	v_dual_mov_b32 v23, v26 :: v_dual_mov_b32 v26, v28
	s_wait_alu 0xf1ff
	v_add_co_ci_u32_e64 v21, s0, v42, v21, s0
	s_clause 0x1
	global_load_b128 v[8:11], v[9:10], off
	global_load_b128 v[32:35], v[20:21], off
	v_lshlrev_b64_e32 v[20:21], 4, v[22:23]
	v_mad_co_u64_u32 v[22:23], null, s7, v51, v[26:27]
	v_mov_b32_e32 v23, v31
	v_mov_b32_e32 v25, v29
	v_add_nc_u32_e32 v29, 0x268, v70
	v_add_co_u32 v20, s0, v41, v20
	s_delay_alu instid0(VALU_DEP_4) | instskip(SKIP_1) | instid1(VALU_DEP_4)
	v_mad_co_u64_u32 v[38:39], null, s7, v38, v[23:24]
	v_mov_b32_e32 v28, v22
	v_mad_co_u64_u32 v[39:40], null, s6, v29, 0
	v_lshlrev_b64_e32 v[24:25], 4, v[24:25]
	v_mov_b32_e32 v23, v37
	s_wait_alu 0xf1ff
	v_add_co_ci_u32_e64 v21, s0, v42, v21, s0
	v_lshlrev_b64_e32 v[26:27], 4, v[27:28]
	v_mov_b32_e32 v31, v38
	v_mad_co_u64_u32 v[22:23], null, s7, v50, v[23:24]
	v_mov_b32_e32 v23, v40
	v_add_co_u32 v24, s0, v41, v24
	s_wait_alu 0xf1ff
	v_add_co_ci_u32_e64 v25, s0, v42, v25, s0
	s_delay_alu instid0(VALU_DEP_2)
	v_mad_co_u64_u32 v[28:29], null, s7, v29, v[23:24]
	v_mov_b32_e32 v37, v22
	v_lshlrev_b64_e32 v[29:30], 4, v[30:31]
	v_add_co_u32 v22, s0, v41, v26
	s_wait_alu 0xf1ff
	v_add_co_ci_u32_e64 v23, s0, v42, v27, s0
	v_mov_b32_e32 v40, v28
	v_lshlrev_b64_e32 v[26:27], 4, v[36:37]
	v_add_co_u32 v36, s0, v41, v29
	s_wait_alu 0xf1ff
	v_add_co_ci_u32_e64 v37, s0, v42, v30, s0
	v_lshlrev_b64_e32 v[28:29], 4, v[39:40]
	s_delay_alu instid0(VALU_DEP_4) | instskip(SKIP_2) | instid1(VALU_DEP_3)
	v_add_co_u32 v38, s0, v41, v26
	s_wait_alu 0xf1ff
	v_add_co_ci_u32_e64 v39, s0, v42, v27, s0
	v_add_co_u32 v52, s0, v41, v28
	s_wait_alu 0xf1ff
	v_add_co_ci_u32_e64 v53, s0, v42, v29, s0
	s_clause 0x5
	global_load_b128 v[28:31], v[20:21], off
	global_load_b128 v[44:47], v[24:25], off
	;; [unrolled: 1-line block ×6, first 2 shown]
.LBB0_13:
	s_or_b32 exec_lo, exec_lo, s1
	s_wait_loadcnt 0xa
	v_add_f64_e64 v[16:17], v[4:5], -v[16:17]
	v_add_f64_e64 v[66:67], v[6:7], -v[18:19]
	s_wait_loadcnt 0x8
	v_add_f64_e64 v[58:59], v[0:1], -v[12:13]
	v_add_f64_e64 v[77:78], v[2:3], -v[14:15]
	;; [unrolled: 3-line block ×6, first 2 shown]
	v_and_b32_e32 v47, 1, v70
	v_lshlrev_b32_e32 v12, 3, v50
	v_and_b32_e32 v94, 15, v50
	v_and_b32_e32 v91, 15, v70
	;; [unrolled: 1-line block ×8, first 2 shown]
	s_mov_b32 s2, 0xe8584caa
	s_mov_b32 s3, 0xbfebb67a
	;; [unrolled: 1-line block ×3, first 2 shown]
	s_wait_alu 0xfffe
	s_mov_b32 s10, s2
	v_cmp_gt_u32_e64 s0, 40, v70
	v_fma_f64 v[14:15], v[4:5], 2.0, -v[16:17]
	v_fma_f64 v[64:65], v[6:7], 2.0, -v[66:67]
	;; [unrolled: 1-line block ×12, first 2 shown]
	v_lshl_add_u32 v21, v70, 4, 0
	v_lshlrev_b32_e32 v0, 3, v70
	v_lshl_add_u32 v8, v71, 4, 0
	v_lshlrev_b32_e32 v9, 3, v71
	;; [unrolled: 2-line block ×3, first 2 shown]
	v_sub_nc_u32_e32 v72, v21, v0
	v_lshl_add_u32 v25, v55, 4, 0
	v_lshl_add_u32 v28, v51, 4, 0
	;; [unrolled: 1-line block ×3, first 2 shown]
	v_lshlrev_b32_e32 v4, 3, v55
	v_lshlrev_b32_e32 v5, 3, v51
	;; [unrolled: 1-line block ×3, first 2 shown]
	v_add_nc_u32_e32 v73, 0x800, v72
	v_sub_nc_u32_e32 v0, v8, v9
	v_sub_nc_u32_e32 v10, v24, v1
	;; [unrolled: 1-line block ×5, first 2 shown]
	v_add_nc_u32_e32 v74, 0x1000, v72
	v_lshlrev_b32_e32 v11, 1, v50
	v_sub_nc_u32_e32 v9, 0, v9
	ds_store_b128 v21, v[14:17]
	ds_store_b128 v8, v[56:59]
	;; [unrolled: 1-line block ×6, first 2 shown]
	global_wb scope:SCOPE_SE
	s_wait_dscnt 0x0
	s_barrier_signal -1
	s_barrier_wait -1
	global_inv scope:SCOPE_SE
	ds_load_2addr_b64 v[3:6], v73 offset0:80 offset1:136
	ds_load_2addr_b64 v[13:16], v73 offset0:192 offset1:248
	ds_load_b64 v[37:38], v72
	ds_load_b64 v[39:40], v0
	;; [unrolled: 1-line block ×4, first 2 shown]
	ds_load_2addr_b64 v[17:20], v74 offset0:48 offset1:104
	ds_load_b64 v[45:46], v2
	ds_load_b64 v[52:53], v12
	global_wb scope:SCOPE_SE
	s_wait_dscnt 0x0
	s_barrier_signal -1
	s_barrier_wait -1
	global_inv scope:SCOPE_SE
	ds_store_b128 v21, v[64:67]
	ds_store_b128 v8, v[75:78]
	;; [unrolled: 1-line block ×6, first 2 shown]
	global_wb scope:SCOPE_SE
	s_wait_dscnt 0x0
	s_barrier_signal -1
	s_barrier_wait -1
	global_inv scope:SCOPE_SE
	global_load_b128 v[21:24], v7, s[8:9]
	ds_load_2addr_b64 v[25:28], v73 offset0:80 offset1:136
	ds_load_2addr_b64 v[29:32], v73 offset0:192 offset1:248
	;; [unrolled: 1-line block ×3, first 2 shown]
	v_lshlrev_b32_e32 v7, 1, v51
	s_wait_loadcnt_dscnt 0x2
	v_mul_f64_e32 v[56:57], v[25:26], v[23:24]
	v_mul_f64_e32 v[58:59], v[27:28], v[23:24]
	s_wait_dscnt 0x1
	v_mul_f64_e32 v[60:61], v[29:30], v[23:24]
	v_mul_f64_e32 v[62:63], v[31:32], v[23:24]
	s_wait_dscnt 0x0
	v_mul_f64_e32 v[64:65], v[33:34], v[23:24]
	v_mul_f64_e32 v[66:67], v[35:36], v[23:24]
	;; [unrolled: 1-line block ×8, first 2 shown]
	v_fma_f64 v[3:4], v[3:4], v[21:22], v[56:57]
	v_fma_f64 v[5:6], v[5:6], v[21:22], v[58:59]
	;; [unrolled: 1-line block ×6, first 2 shown]
	v_fma_f64 v[25:26], v[25:26], v[21:22], -v[68:69]
	v_fma_f64 v[27:28], v[27:28], v[21:22], -v[75:76]
	;; [unrolled: 1-line block ×6, first 2 shown]
	ds_load_b64 v[56:57], v72
	ds_load_b64 v[58:59], v0
	ds_load_b64 v[60:61], v10
	ds_load_b64 v[62:63], v1
	ds_load_b64 v[64:65], v2
	ds_load_b64 v[66:67], v12
	v_and_or_b32 v78, 0x3fc, v7, v47
	global_wb scope:SCOPE_SE
	s_wait_dscnt 0x0
	s_barrier_signal -1
	s_barrier_wait -1
	global_inv scope:SCOPE_SE
	v_lshl_add_u32 v84, v78, 3, 0
	v_add_f64_e64 v[23:24], v[37:38], -v[3:4]
	v_add_f64_e64 v[35:36], v[39:40], -v[5:6]
	;; [unrolled: 1-line block ×12, first 2 shown]
	v_lshlrev_b32_e32 v3, 1, v70
	v_lshlrev_b32_e32 v4, 1, v71
	;; [unrolled: 1-line block ×4, first 2 shown]
	v_lshrrev_b32_e32 v54, 5, v54
	v_and_or_b32 v51, 0x7c, v3, v47
	v_and_or_b32 v75, 0xfc, v4, v47
	;; [unrolled: 1-line block ×5, first 2 shown]
	v_lshl_add_u32 v80, v51, 3, 0
	v_lshl_add_u32 v81, v75, 3, 0
	;; [unrolled: 1-line block ×5, first 2 shown]
	v_lshrrev_b32_e32 v55, 5, v55
	v_mul_lo_u32 v54, 0x60, v54
	s_delay_alu instid0(VALU_DEP_2) | instskip(NEXT) | instid1(VALU_DEP_2)
	v_mul_lo_u32 v55, 0x60, v55
	v_or_b32_e32 v54, v54, v119
	v_fma_f64 v[21:22], v[37:38], 2.0, -v[23:24]
	v_fma_f64 v[37:38], v[39:40], 2.0, -v[35:36]
	;; [unrolled: 1-line block ×12, first 2 shown]
	v_and_b32_e32 v53, 3, v70
	v_or_b32_e32 v55, v55, v120
	ds_store_2addr_b64 v80, v[21:22], v[23:24] offset1:2
	ds_store_2addr_b64 v81, v[37:38], v[35:36] offset1:2
	;; [unrolled: 1-line block ×6, first 2 shown]
	v_lshlrev_b32_e32 v79, 4, v53
	global_wb scope:SCOPE_SE
	s_wait_dscnt 0x0
	s_barrier_signal -1
	s_barrier_wait -1
	global_inv scope:SCOPE_SE
	ds_load_2addr_b64 v[13:16], v73 offset0:80 offset1:136
	ds_load_2addr_b64 v[17:20], v73 offset0:192 offset1:248
	ds_load_b64 v[41:42], v72
	ds_load_b64 v[43:44], v0
	;; [unrolled: 1-line block ×4, first 2 shown]
	ds_load_2addr_b64 v[21:24], v74 offset0:48 offset1:104
	ds_load_b64 v[75:76], v2
	ds_load_b64 v[77:78], v12
	global_wb scope:SCOPE_SE
	s_wait_dscnt 0x0
	s_barrier_signal -1
	s_barrier_wait -1
	global_inv scope:SCOPE_SE
	ds_store_2addr_b64 v80, v[51:52], v[25:26] offset1:2
	ds_store_2addr_b64 v81, v[56:57], v[27:28] offset1:2
	;; [unrolled: 1-line block ×6, first 2 shown]
	global_wb scope:SCOPE_SE
	s_wait_dscnt 0x0
	s_barrier_signal -1
	s_barrier_wait -1
	global_inv scope:SCOPE_SE
	global_load_b128 v[25:28], v79, s[8:9] offset:32
	ds_load_2addr_b64 v[29:32], v73 offset0:80 offset1:136
	ds_load_2addr_b64 v[33:36], v73 offset0:192 offset1:248
	;; [unrolled: 1-line block ×3, first 2 shown]
	v_and_b32_e32 v47, 7, v70
	s_delay_alu instid0(VALU_DEP_1)
	v_and_or_b32 v50, 0x70, v3, v47
	s_wait_loadcnt_dscnt 0x2
	v_mul_f64_e32 v[51:52], v[29:30], v[27:28]
	v_mul_f64_e32 v[68:69], v[13:14], v[27:28]
	;; [unrolled: 1-line block ×4, first 2 shown]
	s_wait_dscnt 0x1
	v_mul_f64_e32 v[58:59], v[33:34], v[27:28]
	v_mul_f64_e32 v[81:82], v[17:18], v[27:28]
	;; [unrolled: 1-line block ×4, first 2 shown]
	s_wait_dscnt 0x0
	v_mul_f64_e32 v[62:63], v[37:38], v[27:28]
	v_mul_f64_e32 v[85:86], v[21:22], v[27:28]
	;; [unrolled: 1-line block ×4, first 2 shown]
	v_fma_f64 v[13:14], v[13:14], v[25:26], v[51:52]
	v_fma_f64 v[29:30], v[29:30], v[25:26], -v[68:69]
	v_fma_f64 v[15:16], v[15:16], v[25:26], v[56:57]
	v_fma_f64 v[31:32], v[31:32], v[25:26], -v[79:80]
	;; [unrolled: 2-line block ×6, first 2 shown]
	ds_load_b64 v[27:28], v72
	ds_load_b64 v[39:40], v0
	ds_load_b64 v[51:52], v10
	ds_load_b64 v[56:57], v1
	ds_load_b64 v[58:59], v2
	ds_load_b64 v[60:61], v12
	v_and_or_b32 v68, 0x78, v3, v53
	v_and_or_b32 v69, 0xf8, v4, v53
	global_wb scope:SCOPE_SE
	s_wait_dscnt 0x0
	s_barrier_signal -1
	s_barrier_wait -1
	v_lshl_add_u32 v68, v68, 3, 0
	v_lshl_add_u32 v69, v69, 3, 0
	global_inv scope:SCOPE_SE
	v_and_or_b32 v3, 0x60, v3, v91
	v_add_f64_e64 v[13:14], v[41:42], -v[13:14]
	v_add_f64_e64 v[29:30], v[27:28], -v[29:30]
	;; [unrolled: 1-line block ×12, first 2 shown]
	v_fma_f64 v[41:42], v[41:42], 2.0, -v[13:14]
	v_fma_f64 v[27:28], v[27:28], 2.0, -v[29:30]
	;; [unrolled: 1-line block ×12, first 2 shown]
	v_and_or_b32 v75, 0x1f8, v5, v53
	v_and_or_b32 v76, 0x1f8, v6, v53
	;; [unrolled: 1-line block ×4, first 2 shown]
	v_lshlrev_b32_e32 v78, 4, v47
	v_lshl_add_u32 v75, v75, 3, 0
	v_lshl_add_u32 v76, v76, 3, 0
	;; [unrolled: 1-line block ×4, first 2 shown]
	ds_store_2addr_b64 v68, v[41:42], v[13:14] offset1:4
	ds_store_2addr_b64 v69, v[43:44], v[15:16] offset1:4
	;; [unrolled: 1-line block ×6, first 2 shown]
	global_wb scope:SCOPE_SE
	s_wait_dscnt 0x0
	s_barrier_signal -1
	s_barrier_wait -1
	global_inv scope:SCOPE_SE
	ds_load_2addr_b64 v[13:16], v73 offset0:80 offset1:136
	ds_load_2addr_b64 v[17:20], v73 offset0:192 offset1:248
	ds_load_b64 v[41:42], v72
	ds_load_b64 v[43:44], v0
	;; [unrolled: 1-line block ×4, first 2 shown]
	ds_load_2addr_b64 v[21:24], v74 offset0:48 offset1:104
	ds_load_b64 v[64:65], v2
	ds_load_b64 v[66:67], v12
	global_wb scope:SCOPE_SE
	s_wait_dscnt 0x0
	s_barrier_signal -1
	s_barrier_wait -1
	global_inv scope:SCOPE_SE
	ds_store_2addr_b64 v68, v[27:28], v[29:30] offset1:4
	ds_store_2addr_b64 v69, v[39:40], v[31:32] offset1:4
	;; [unrolled: 1-line block ×6, first 2 shown]
	global_wb scope:SCOPE_SE
	s_wait_dscnt 0x0
	s_barrier_signal -1
	s_barrier_wait -1
	global_inv scope:SCOPE_SE
	global_load_b128 v[25:28], v78, s[8:9] offset:96
	ds_load_2addr_b64 v[29:32], v73 offset0:80 offset1:136
	ds_load_2addr_b64 v[33:36], v73 offset0:192 offset1:248
	ds_load_2addr_b64 v[37:40], v74 offset0:48 offset1:104
	s_wait_loadcnt_dscnt 0x2
	v_mul_f64_e32 v[51:52], v[29:30], v[27:28]
	v_mul_f64_e32 v[77:78], v[13:14], v[27:28]
	;; [unrolled: 1-line block ×4, first 2 shown]
	s_wait_dscnt 0x1
	v_mul_f64_e32 v[58:59], v[33:34], v[27:28]
	v_mul_f64_e32 v[81:82], v[17:18], v[27:28]
	;; [unrolled: 1-line block ×4, first 2 shown]
	s_wait_dscnt 0x0
	v_mul_f64_e32 v[68:69], v[37:38], v[27:28]
	v_mul_f64_e32 v[85:86], v[21:22], v[27:28]
	;; [unrolled: 1-line block ×4, first 2 shown]
	v_fma_f64 v[13:14], v[13:14], v[25:26], v[51:52]
	v_fma_f64 v[29:30], v[29:30], v[25:26], -v[77:78]
	v_fma_f64 v[15:16], v[15:16], v[25:26], v[56:57]
	v_fma_f64 v[31:32], v[31:32], v[25:26], -v[79:80]
	;; [unrolled: 2-line block ×6, first 2 shown]
	ds_load_b64 v[27:28], v72
	ds_load_b64 v[39:40], v0
	ds_load_b64 v[51:52], v10
	ds_load_b64 v[56:57], v1
	ds_load_b64 v[58:59], v2
	ds_load_b64 v[60:61], v12
	v_lshl_add_u32 v81, v50, 3, 0
	v_and_or_b32 v68, 0xf0, v4, v47
	v_and_or_b32 v69, 0x1f0, v5, v47
	;; [unrolled: 1-line block ×5, first 2 shown]
	v_lshlrev_b32_e32 v77, 4, v91
	v_lshlrev_b32_e32 v78, 4, v92
	v_lshl_add_u32 v82, v68, 3, 0
	v_lshlrev_b32_e32 v79, 4, v93
	v_lshl_add_u32 v83, v69, 3, 0
	;; [unrolled: 2-line block ×3, first 2 shown]
	v_lshl_add_u32 v76, v76, 3, 0
	v_lshl_add_u32 v47, v47, 3, 0
	global_wb scope:SCOPE_SE
	s_wait_dscnt 0x0
	s_barrier_signal -1
	s_barrier_wait -1
	global_inv scope:SCOPE_SE
	v_and_or_b32 v4, 0xe0, v4, v92
	v_and_or_b32 v5, 0x1e0, v5, v91
	;; [unrolled: 1-line block ×4, first 2 shown]
	v_add_f64_e64 v[13:14], v[41:42], -v[13:14]
	v_add_f64_e64 v[29:30], v[27:28], -v[29:30]
	;; [unrolled: 1-line block ×12, first 2 shown]
	v_lshl_add_u32 v7, v7, 3, 0
	v_fma_f64 v[41:42], v[41:42], 2.0, -v[13:14]
	v_fma_f64 v[27:28], v[27:28], 2.0, -v[29:30]
	;; [unrolled: 1-line block ×12, first 2 shown]
	ds_store_2addr_b64 v81, v[41:42], v[13:14] offset1:8
	ds_store_2addr_b64 v82, v[43:44], v[15:16] offset1:8
	;; [unrolled: 1-line block ×6, first 2 shown]
	global_wb scope:SCOPE_SE
	s_wait_dscnt 0x0
	s_barrier_signal -1
	s_barrier_wait -1
	global_inv scope:SCOPE_SE
	ds_load_2addr_b64 v[13:16], v73 offset0:80 offset1:136
	ds_load_2addr_b64 v[17:20], v73 offset0:192 offset1:248
	ds_load_b64 v[45:46], v72
	ds_load_b64 v[60:61], v0
	;; [unrolled: 1-line block ×4, first 2 shown]
	ds_load_2addr_b64 v[21:24], v74 offset0:48 offset1:104
	ds_load_b64 v[66:67], v2
	ds_load_b64 v[68:69], v12
	global_wb scope:SCOPE_SE
	s_wait_dscnt 0x0
	s_barrier_signal -1
	s_barrier_wait -1
	global_inv scope:SCOPE_SE
	ds_store_2addr_b64 v81, v[27:28], v[29:30] offset1:8
	ds_store_2addr_b64 v82, v[39:40], v[31:32] offset1:8
	;; [unrolled: 1-line block ×6, first 2 shown]
	global_wb scope:SCOPE_SE
	s_wait_dscnt 0x0
	s_barrier_signal -1
	s_barrier_wait -1
	global_inv scope:SCOPE_SE
	s_clause 0x3
	global_load_b128 v[25:28], v77, s[8:9] offset:224
	global_load_b128 v[29:32], v78, s[8:9] offset:224
	;; [unrolled: 1-line block ×4, first 2 shown]
	ds_load_2addr_b64 v[41:44], v73 offset0:80 offset1:136
	ds_load_2addr_b64 v[50:53], v73 offset0:192 offset1:248
	ds_load_2addr_b64 v[56:59], v74 offset0:48 offset1:104
	v_and_or_b32 v47, 0x2e0, v11, v94
	s_delay_alu instid0(VALU_DEP_1)
	v_lshl_add_u32 v47, v47, 3, 0
	s_wait_loadcnt_dscnt 0x302
	v_mul_f64_e32 v[75:76], v[41:42], v[27:28]
	v_mul_f64_e32 v[87:88], v[13:14], v[27:28]
	s_wait_loadcnt 0x2
	v_mul_f64_e32 v[77:78], v[43:44], v[31:32]
	v_mul_f64_e32 v[31:32], v[15:16], v[31:32]
	s_wait_dscnt 0x1
	v_mul_f64_e32 v[79:80], v[50:51], v[27:28]
	v_mul_f64_e32 v[89:90], v[17:18], v[27:28]
	s_wait_loadcnt 0x1
	v_mul_f64_e32 v[81:82], v[52:53], v[35:36]
	v_mul_f64_e32 v[35:36], v[19:20], v[35:36]
	s_wait_dscnt 0x0
	v_mul_f64_e32 v[83:84], v[56:57], v[27:28]
	v_mul_f64_e32 v[27:28], v[21:22], v[27:28]
	s_wait_loadcnt 0x0
	v_mul_f64_e32 v[85:86], v[58:59], v[39:40]
	v_mul_f64_e32 v[39:40], v[23:24], v[39:40]
	v_fma_f64 v[13:14], v[13:14], v[25:26], v[75:76]
	v_fma_f64 v[41:42], v[41:42], v[25:26], -v[87:88]
	v_fma_f64 v[15:16], v[15:16], v[29:30], v[77:78]
	v_fma_f64 v[29:30], v[43:44], v[29:30], -v[31:32]
	;; [unrolled: 2-line block ×6, first 2 shown]
	ds_load_b64 v[35:36], v72
	ds_load_b64 v[37:38], v0
	;; [unrolled: 1-line block ×6, first 2 shown]
	v_lshl_add_u32 v75, v4, 3, 0
	v_add_nc_u32_e32 v83, 0xc00, v72
	global_wb scope:SCOPE_SE
	s_wait_dscnt 0x0
	s_barrier_signal -1
	s_barrier_wait -1
	global_inv scope:SCOPE_SE
	v_add_f64_e64 v[13:14], v[45:46], -v[13:14]
	v_add_f64_e64 v[41:42], v[35:36], -v[41:42]
	;; [unrolled: 1-line block ×12, first 2 shown]
	v_fma_f64 v[25:26], v[45:46], 2.0, -v[13:14]
	v_fma_f64 v[11:12], v[35:36], 2.0, -v[41:42]
	;; [unrolled: 1-line block ×12, first 2 shown]
	v_lshlrev_b32_e32 v67, 5, v118
	v_lshl_add_u32 v69, v3, 3, 0
	v_lshlrev_b32_e32 v66, 5, v117
	v_lshlrev_b32_e32 v68, 5, v119
	v_lshl_add_u32 v52, v5, 3, 0
	v_lshl_add_u32 v53, v6, 3, 0
	ds_store_2addr_b64 v69, v[25:26], v[13:14] offset1:16
	ds_store_2addr_b64 v75, v[27:28], v[15:16] offset1:16
	;; [unrolled: 1-line block ×6, first 2 shown]
	global_wb scope:SCOPE_SE
	s_wait_dscnt 0x0
	s_barrier_signal -1
	s_barrier_wait -1
	global_inv scope:SCOPE_SE
	ds_load_b64 v[87:88], v72
	ds_load_2addr_b64 v[3:6], v73 offset0:136 offset1:192
	ds_load_2addr_b64 v[20:23], v73 offset0:24 offset1:80
	;; [unrolled: 1-line block ×3, first 2 shown]
	ds_load_b64 v[89:90], v2
	ds_load_b64 v[91:92], v1
	;; [unrolled: 1-line block ×4, first 2 shown]
	ds_load_b64 v[97:98], v72 offset:4928
	global_wb scope:SCOPE_SE
	s_wait_dscnt 0x0
	s_barrier_signal -1
	s_barrier_wait -1
	global_inv scope:SCOPE_SE
	ds_store_2addr_b64 v69, v[11:12], v[41:42] offset1:16
	ds_store_2addr_b64 v75, v[35:36], v[29:30] offset1:16
	ds_store_2addr_b64 v52, v[37:38], v[31:32] offset1:16
	ds_store_2addr_b64 v53, v[39:40], v[33:34] offset1:16
	ds_store_2addr_b64 v7, v[43:44], v[56:57] offset1:16
	ds_store_2addr_b64 v47, v[50:51], v[58:59] offset1:16
	global_wb scope:SCOPE_SE
	s_wait_dscnt 0x0
	s_barrier_signal -1
	s_barrier_wait -1
	global_inv scope:SCOPE_SE
	s_clause 0x1
	global_load_b128 v[32:35], v67, s[8:9] offset:480
	global_load_b128 v[36:39], v68, s[8:9] offset:480
	v_lshlrev_b32_e32 v7, 5, v120
	s_clause 0x5
	global_load_b128 v[28:31], v66, s[8:9] offset:480
	global_load_b128 v[44:47], v66, s[8:9] offset:496
	;; [unrolled: 1-line block ×6, first 2 shown]
	ds_load_2addr_b64 v[62:65], v73 offset0:24 offset1:80
	ds_load_b64 v[99:100], v2
	ds_load_2addr_b64 v[79:82], v73 offset0:136 offset1:192
	ds_load_2addr_b64 v[83:86], v83 offset0:120 offset1:176
	ds_load_b64 v[101:102], v72 offset:4928
	ds_load_b64 v[12:13], v1
	ds_load_b64 v[16:17], v72
	;; [unrolled: 1-line block ×3, first 2 shown]
	v_lshrrev_b32_e32 v11, 5, v70
	s_delay_alu instid0(VALU_DEP_1)
	v_mul_u32_u24_e32 v11, 0x60, v11
	s_wait_loadcnt_dscnt 0x506
	v_mul_f64_e32 v[1:2], v[99:100], v[30:31]
	s_wait_loadcnt_dscnt 0x405
	v_mul_f64_e32 v[42:43], v[81:82], v[46:47]
	v_mul_f64_e32 v[18:19], v[62:63], v[34:35]
	s_wait_loadcnt_dscnt 0x304
	v_mul_f64_e32 v[103:104], v[83:84], v[52:53]
	v_mul_f64_e32 v[40:41], v[64:65], v[38:39]
	s_wait_loadcnt 0x2
	v_mul_f64_e32 v[105:106], v[85:86], v[60:61]
	s_wait_loadcnt 0x1
	v_mul_f64_e32 v[107:108], v[79:80], v[68:69]
	s_wait_loadcnt_dscnt 0x3
	v_mul_f64_e32 v[109:110], v[101:102], v[77:78]
	v_mul_f64_e32 v[111:112], v[89:90], v[30:31]
	;; [unrolled: 1-line block ×7, first 2 shown]
	v_fma_f64 v[46:47], v[89:90], v[28:29], v[1:2]
	v_fma_f64 v[56:57], v[5:6], v[44:45], v[42:43]
	;; [unrolled: 1-line block ×5, first 2 shown]
	v_mul_f64_e32 v[0:1], v[3:4], v[68:69]
	v_fma_f64 v[30:31], v[26:27], v[58:59], v[105:106]
	v_mul_f64_e32 v[5:6], v[97:98], v[77:78]
	v_fma_f64 v[22:23], v[3:4], v[66:67], v[107:108]
	v_fma_f64 v[40:41], v[97:98], v[75:76], v[109:110]
	v_fma_f64 v[60:61], v[99:100], v[28:29], -v[111:112]
	v_fma_f64 v[28:29], v[81:82], v[44:45], -v[113:114]
	;; [unrolled: 1-line block ×6, first 2 shown]
	v_add_f64_e32 v[2:3], v[46:47], v[56:57]
	v_add_f64_e32 v[32:33], v[95:96], v[20:21]
	;; [unrolled: 1-line block ×4, first 2 shown]
	v_fma_f64 v[66:67], v[79:80], v[66:67], -v[0:1]
	v_add_f64_e32 v[0:1], v[18:19], v[30:31]
	v_fma_f64 v[58:59], v[101:102], v[75:76], -v[5:6]
	v_add_f64_e32 v[6:7], v[87:88], v[46:47]
	v_add_f64_e32 v[4:5], v[22:23], v[40:41]
	v_add_f64_e32 v[36:37], v[91:92], v[22:23]
	v_add_f64_e64 v[26:27], v[60:61], -v[28:29]
	v_add_f64_e64 v[50:51], v[62:63], -v[44:45]
	;; [unrolled: 1-line block ×3, first 2 shown]
	v_fma_f64 v[38:39], v[2:3], -0.5, v[87:88]
	v_add_f64_e32 v[32:33], v[32:33], v[42:43]
	v_fma_f64 v[24:25], v[24:25], -0.5, v[95:96]
	v_add_f64_e32 v[34:35], v[34:35], v[30:31]
	v_fma_f64 v[0:1], v[0:1], -0.5, v[93:94]
	v_add_f64_e64 v[75:76], v[66:67], -v[58:59]
	v_add_f64_e32 v[81:82], v[6:7], v[56:57]
	v_fma_f64 v[77:78], v[4:5], -0.5, v[91:92]
	v_add_f64_e32 v[2:3], v[36:37], v[40:41]
	v_fma_f64 v[36:37], v[26:27], s[2:3], v[38:39]
	s_wait_alu 0xfffe
	v_fma_f64 v[26:27], v[26:27], s[10:11], v[38:39]
	v_fma_f64 v[38:39], v[50:51], s[2:3], v[24:25]
	;; [unrolled: 1-line block ×5, first 2 shown]
	v_lshrrev_b32_e32 v68, 5, v71
	v_fma_f64 v[4:5], v[75:76], s[2:3], v[77:78]
	v_fma_f64 v[6:7], v[75:76], s[10:11], v[77:78]
	v_lshl_add_u32 v78, v54, 3, 0
	v_lshl_add_u32 v77, v55, 3, 0
	v_mul_lo_u32 v75, 0x60, v68
	ds_load_b64 v[68:69], v10
	v_or_b32_e32 v10, v11, v117
	global_wb scope:SCOPE_SE
	s_wait_dscnt 0x0
	s_barrier_signal -1
	s_barrier_wait -1
	global_inv scope:SCOPE_SE
	v_lshl_add_u32 v80, v10, 3, 0
	v_or_b32_e32 v11, v75, v118
	v_add_nc_u32_e32 v75, 0x400, v72
	v_add_nc_u32_e32 v76, v8, v9
	s_delay_alu instid0(VALU_DEP_3)
	v_lshl_add_u32 v79, v11, 3, 0
	ds_store_2addr_b64 v80, v[81:82], v[36:37] offset1:32
	ds_store_b64 v80, v[26:27] offset:512
	ds_store_2addr_b64 v79, v[32:33], v[38:39] offset1:32
	ds_store_b64 v79, v[24:25] offset:512
	;; [unrolled: 2-line block ×4, first 2 shown]
	global_wb scope:SCOPE_SE
	s_wait_dscnt 0x0
	s_barrier_signal -1
	s_barrier_wait -1
	global_inv scope:SCOPE_SE
	ds_load_2addr_b64 v[24:27], v72 offset1:96
	ds_load_2addr_b64 v[32:35], v75 offset0:64 offset1:160
	ds_load_2addr_b64 v[36:39], v73 offset0:128 offset1:224
	ds_load_b64 v[54:55], v72 offset:4608
                                        ; implicit-def: $vgpr10_vgpr11
	s_and_saveexec_b32 s1, s0
	s_cbranch_execz .LBB0_15
; %bb.14:
	ds_load_b64 v[50:51], v76
	ds_load_2addr_b64 v[0:3], v72 offset0:152 offset1:248
	ds_load_2addr_b64 v[4:7], v73 offset0:88 offset1:184
	;; [unrolled: 1-line block ×3, first 2 shown]
.LBB0_15:
	s_wait_alu 0xfffe
	s_or_b32 exec_lo, exec_lo, s1
	v_add_f64_e32 v[81:82], v[60:61], v[28:29]
	v_add_f64_e32 v[83:84], v[62:63], v[44:45]
	v_add_f64_e32 v[85:86], v[64:65], v[52:53]
	v_add_f64_e32 v[87:88], v[66:67], v[58:59]
	v_add_f64_e32 v[60:61], v[16:17], v[60:61]
	v_add_f64_e64 v[46:47], v[46:47], -v[56:57]
	v_add_f64_e32 v[56:57], v[14:15], v[62:63]
	v_add_f64_e32 v[62:63], v[68:69], v[64:65]
	;; [unrolled: 1-line block ×3, first 2 shown]
	v_add_f64_e64 v[20:21], v[20:21], -v[42:43]
	v_add_f64_e64 v[18:19], v[18:19], -v[30:31]
	;; [unrolled: 1-line block ×3, first 2 shown]
	global_wb scope:SCOPE_SE
	s_wait_dscnt 0x0
	s_barrier_signal -1
	s_barrier_wait -1
	global_inv scope:SCOPE_SE
	v_fma_f64 v[16:17], v[81:82], -0.5, v[16:17]
	v_fma_f64 v[42:43], v[83:84], -0.5, v[14:15]
	;; [unrolled: 1-line block ×4, first 2 shown]
	v_add_f64_e32 v[28:29], v[60:61], v[28:29]
	v_add_f64_e32 v[44:45], v[56:57], v[44:45]
	;; [unrolled: 1-line block ×4, first 2 shown]
	v_fma_f64 v[58:59], v[46:47], s[10:11], v[16:17]
	v_fma_f64 v[46:47], v[46:47], s[2:3], v[16:17]
	;; [unrolled: 1-line block ×8, first 2 shown]
                                        ; implicit-def: $vgpr22_vgpr23
	ds_store_2addr_b64 v80, v[28:29], v[58:59] offset1:32
	ds_store_b64 v80, v[46:47] offset:512
	ds_store_2addr_b64 v79, v[44:45], v[60:61] offset1:32
	ds_store_b64 v79, v[20:21] offset:512
	;; [unrolled: 2-line block ×4, first 2 shown]
	global_wb scope:SCOPE_SE
	s_wait_dscnt 0x0
	s_barrier_signal -1
	s_barrier_wait -1
	global_inv scope:SCOPE_SE
	ds_load_2addr_b64 v[28:31], v72 offset1:96
	ds_load_2addr_b64 v[40:43], v75 offset0:64 offset1:160
	ds_load_2addr_b64 v[44:47], v73 offset0:128 offset1:224
	ds_load_b64 v[56:57], v72 offset:4608
	s_and_saveexec_b32 s1, s0
	s_cbranch_execz .LBB0_17
; %bb.16:
	v_add_nc_u32_e32 v16, 0x800, v72
	v_add_nc_u32_e32 v20, 0x1000, v72
	ds_load_b64 v[52:53], v76
	ds_load_2addr_b64 v[12:15], v72 offset0:152 offset1:248
	ds_load_2addr_b64 v[16:19], v16 offset0:88 offset1:184
	;; [unrolled: 1-line block ×3, first 2 shown]
.LBB0_17:
	s_wait_alu 0xfffe
	s_or_b32 exec_lo, exec_lo, s1
	s_and_saveexec_b32 s1, vcc_lo
	s_cbranch_execz .LBB0_20
; %bb.18:
	v_mul_u32_u24_e32 v58, 6, v70
	s_mov_b32 s22, 0xe976ee23
	s_mov_b32 s28, 0x37e14327
	;; [unrolled: 1-line block ×4, first 2 shown]
	v_lshlrev_b32_e32 v80, 4, v58
	s_mov_b32 s23, 0x3fe11646
	s_mov_b32 s29, 0x3fe948f6
	;; [unrolled: 1-line block ×4, first 2 shown]
	s_clause 0x5
	global_load_b128 v[58:61], v80, s[8:9] offset:1584
	global_load_b128 v[62:65], v80, s[8:9] offset:1504
	;; [unrolled: 1-line block ×6, first 2 shown]
	s_mov_b32 s24, 0xb247c609
	s_mov_b32 s16, 0xaaaaaaaa
	;; [unrolled: 1-line block ×8, first 2 shown]
	s_wait_alu 0xfffe
	s_mov_b32 s20, s24
	s_mov_b32 s26, s18
	;; [unrolled: 1-line block ×4, first 2 shown]
	s_wait_loadcnt 0x5
	v_mul_f64_e32 v[84:85], v[54:55], v[60:61]
	s_wait_loadcnt 0x4
	v_mul_f64_e32 v[86:87], v[26:27], v[64:65]
	;; [unrolled: 2-line block ×4, first 2 shown]
	s_wait_dscnt 0x3
	v_mul_f64_e32 v[64:65], v[30:31], v[64:65]
	s_wait_dscnt 0x0
	v_mul_f64_e32 v[60:61], v[56:57], v[60:61]
	v_mul_f64_e32 v[74:75], v[40:41], v[74:75]
	;; [unrolled: 1-line block ×3, first 2 shown]
	s_wait_loadcnt 0x1
	v_mul_f64_e32 v[92:93], v[44:45], v[78:79]
	s_wait_loadcnt 0x0
	v_mul_f64_e32 v[94:95], v[42:43], v[82:83]
	v_mul_f64_e32 v[82:83], v[34:35], v[82:83]
	;; [unrolled: 1-line block ×3, first 2 shown]
	v_fma_f64 v[56:57], v[56:57], v[58:59], -v[84:85]
	v_fma_f64 v[30:31], v[30:31], v[62:63], -v[86:87]
	;; [unrolled: 1-line block ×4, first 2 shown]
	v_fma_f64 v[26:27], v[26:27], v[62:63], v[64:65]
	v_fma_f64 v[54:55], v[54:55], v[58:59], v[60:61]
	;; [unrolled: 1-line block ×6, first 2 shown]
	v_fma_f64 v[42:43], v[42:43], v[80:81], -v[82:83]
	v_fma_f64 v[44:45], v[44:45], v[76:77], -v[78:79]
	v_or_b32_e32 v90, 0xc0, v70
	v_add_nc_u32_e32 v93, 0x1e0, v70
	v_or_b32_e32 v94, 0x240, v70
	v_add_nc_u32_e32 v91, 0x120, v70
	v_or_b32_e32 v92, 0x180, v70
	s_delay_alu instid0(VALU_DEP_3)
	v_mad_co_u64_u32 v[82:83], null, s6, v94, 0
	v_add_f64_e32 v[58:59], v[30:31], v[56:57]
	v_add_f64_e64 v[30:31], v[30:31], -v[56:57]
	v_add_f64_e32 v[60:61], v[40:41], v[46:47]
	v_add_f64_e64 v[40:41], v[40:41], -v[46:47]
	v_add_f64_e32 v[62:63], v[26:27], v[54:55]
	v_add_f64_e32 v[64:65], v[32:33], v[38:39]
	v_add_f64_e64 v[32:33], v[32:33], -v[38:39]
	v_add_f64_e64 v[66:67], v[36:37], -v[34:35]
	v_add_f64_e32 v[34:35], v[36:37], v[34:35]
	v_add_f64_e32 v[38:39], v[44:45], v[42:43]
	v_add_f64_e64 v[36:37], v[44:45], -v[42:43]
	v_add_f64_e64 v[42:43], v[26:27], -v[54:55]
	v_add_f64_e32 v[26:27], v[58:59], v[60:61]
	v_add_f64_e64 v[78:79], v[40:41], -v[30:31]
	v_add_f64_e32 v[44:45], v[62:63], v[64:65]
	v_add_f64_e64 v[46:47], v[66:67], -v[32:33]
	v_add_f64_e64 v[56:57], v[34:35], -v[64:65]
	;; [unrolled: 1-line block ×6, first 2 shown]
	v_add_f64_e32 v[32:33], v[66:67], v[32:33]
	v_add_f64_e64 v[62:63], v[64:65], -v[62:63]
	v_add_f64_e32 v[74:75], v[38:39], v[26:27]
	v_add_f64_e64 v[38:39], v[58:59], -v[38:39]
	v_add_f64_e64 v[58:59], v[60:61], -v[58:59]
	v_mul_f64_e32 v[80:81], s[12:13], v[78:79]
	v_add_f64_e32 v[34:35], v[34:35], v[44:45]
	v_add_f64_e64 v[44:45], v[42:43], -v[66:67]
	v_add_f64_e64 v[66:67], v[30:31], -v[36:37]
	v_add_f64_e32 v[36:37], v[36:37], v[40:41]
	v_mul_f64_e32 v[40:41], s[22:23], v[46:47]
	v_mul_f64_e32 v[46:47], s[14:15], v[54:55]
	;; [unrolled: 1-line block ×6, first 2 shown]
	v_add_f64_e32 v[32:33], v[42:43], v[32:33]
	v_add_f64_e32 v[28:29], v[28:29], v[74:75]
	v_mul_f64_e32 v[60:61], s[28:29], v[38:39]
	v_add_f64_e32 v[26:27], v[24:25], v[34:35]
	v_add_co_u32 v24, vcc_lo, s4, v48
	v_add_f64_e32 v[30:31], v[30:31], v[36:37]
	v_fma_f64 v[36:37], v[44:45], s[24:25], v[40:41]
	v_fma_f64 v[38:39], v[38:39], s[28:29], v[46:47]
	;; [unrolled: 1-line block ×4, first 2 shown]
	s_wait_alu 0xfffe
	v_fma_f64 v[44:45], v[44:45], s[20:21], -v[68:69]
	v_fma_f64 v[46:47], v[58:59], s[26:27], -v[46:47]
	;; [unrolled: 1-line block ×5, first 2 shown]
	v_mad_co_u64_u32 v[72:73], null, s6, v90, 0
	v_add_nc_u32_e32 v89, 0x60, v70
	v_mad_co_u64_u32 v[78:79], null, s6, v92, 0
	s_delay_alu instid0(VALU_DEP_3)
	v_mov_b32_e32 v48, v73
	v_fma_f64 v[68:69], v[74:75], s[16:17], v[28:29]
	v_fma_f64 v[60:61], v[58:59], s[18:19], -v[60:61]
	v_fma_f64 v[58:59], v[62:63], s[18:19], -v[64:65]
	;; [unrolled: 1-line block ×3, first 2 shown]
	v_fma_f64 v[34:35], v[34:35], s[16:17], v[26:27]
	v_mad_co_u64_u32 v[62:63], null, s6, v70, 0
	v_mad_co_u64_u32 v[66:67], null, s6, v89, 0
	;; [unrolled: 1-line block ×4, first 2 shown]
	s_delay_alu instid0(VALU_DEP_4) | instskip(SKIP_2) | instid1(VALU_DEP_3)
	v_mov_b32_e32 v25, v63
	v_fma_f64 v[87:88], v[32:33], s[10:11], v[44:45]
	v_fma_f64 v[44:45], v[32:33], s[10:11], v[40:41]
	v_mad_co_u64_u32 v[84:85], null, s7, v70, v[25:26]
	v_fma_f64 v[85:86], v[32:33], s[10:11], v[36:37]
	v_dual_mov_b32 v25, v67 :: v_dual_mov_b32 v36, v81
	v_dual_mov_b32 v37, v83 :: v_dual_mov_b32 v32, v75
	v_mov_b32_e32 v33, v79
	s_delay_alu instid0(VALU_DEP_3) | instskip(SKIP_3) | instid1(VALU_DEP_3)
	v_mad_co_u64_u32 v[40:41], null, s7, v89, v[25:26]
	s_wait_alu 0xfffd
	v_add_co_ci_u32_e32 v25, vcc_lo, s5, v49, vcc_lo
	v_mov_b32_e32 v63, v84
	v_mov_b32_e32 v67, v40
	s_delay_alu instid0(VALU_DEP_2)
	v_lshlrev_b64_e32 v[62:63], 4, v[62:63]
	v_add_f64_e32 v[38:39], v[38:39], v[68:69]
	v_add_f64_e32 v[60:61], v[60:61], v[68:69]
	;; [unrolled: 1-line block ×3, first 2 shown]
	v_fma_f64 v[68:69], v[30:31], s[10:11], v[76:77]
	v_add_f64_e32 v[76:77], v[42:43], v[34:35]
	v_add_f64_e32 v[58:59], v[58:59], v[34:35]
	;; [unrolled: 1-line block ×3, first 2 shown]
	v_fma_f64 v[64:65], v[30:31], s[10:11], v[64:65]
	v_fma_f64 v[30:31], v[30:31], s[10:11], v[56:57]
	v_mad_co_u64_u32 v[54:55], null, s7, v93, v[36:37]
	v_mad_co_u64_u32 v[41:42], null, s7, v90, v[48:49]
	;; [unrolled: 1-line block ×3, first 2 shown]
	v_lshlrev_b64_e32 v[66:67], 4, v[66:67]
	v_add_co_u32 v62, vcc_lo, v24, v62
	v_mov_b32_e32 v81, v54
	v_mov_b32_e32 v73, v41
	s_wait_alu 0xfffd
	v_add_co_ci_u32_e32 v63, vcc_lo, v25, v63, vcc_lo
	v_mov_b32_e32 v75, v42
	v_add_co_u32 v66, vcc_lo, v24, v66
	v_lshlrev_b64_e32 v[72:73], 4, v[72:73]
	s_wait_alu 0xfffd
	v_add_co_ci_u32_e32 v67, vcc_lo, v25, v67, vcc_lo
	v_lshlrev_b64_e32 v[74:75], 4, v[74:75]
	v_mad_co_u64_u32 v[36:37], null, s7, v94, v[37:38]
	v_add_f64_e64 v[56:57], v[38:39], -v[85:86]
	v_add_f64_e64 v[40:41], v[46:47], -v[44:45]
	v_add_f64_e32 v[54:55], v[68:69], v[76:77]
	v_add_f64_e32 v[44:45], v[44:45], v[46:47]
	v_mad_co_u64_u32 v[32:33], null, s7, v92, v[33:34]
	v_add_f64_e64 v[48:49], v[60:61], -v[87:88]
	v_add_f64_e32 v[46:47], v[64:65], v[58:59]
	v_add_f64_e64 v[42:43], v[34:35], -v[30:31]
	v_mov_b32_e32 v83, v36
	v_add_f64_e32 v[36:37], v[87:88], v[60:61]
	v_lshlrev_b64_e32 v[60:61], 4, v[80:81]
	v_mov_b32_e32 v79, v32
	v_add_f64_e32 v[32:33], v[85:86], v[38:39]
	v_add_f64_e32 v[38:39], v[30:31], v[34:35]
	v_add_f64_e64 v[34:35], v[58:59], -v[64:65]
	v_add_f64_e64 v[30:31], v[76:77], -v[68:69]
	v_lshlrev_b64_e32 v[58:59], 4, v[78:79]
	v_lshlrev_b64_e32 v[64:65], 4, v[82:83]
	v_add_co_u32 v68, s1, v24, v72
	v_add_co_u32 v72, s2, v24, v74
	s_delay_alu instid0(VALU_DEP_4)
	v_add_co_u32 v58, s3, v24, v58
	s_wait_alu 0xf1ff
	v_add_co_ci_u32_e64 v69, vcc_lo, v25, v73, s1
	v_add_co_u32 v60, s4, v24, v60
	v_add_co_u32 v64, s5, v24, v64
	v_add_co_ci_u32_e64 v73, vcc_lo, v25, v75, s2
	v_add_co_ci_u32_e64 v59, vcc_lo, v25, v59, s3
	s_wait_alu 0xf1ff
	v_add_co_ci_u32_e64 v61, vcc_lo, v25, v61, s4
	v_add_co_ci_u32_e64 v65, vcc_lo, v25, v65, s5
	s_clause 0x6
	global_store_b128 v[62:63], v[26:29], off
	global_store_b128 v[66:67], v[54:57], off
	global_store_b128 v[68:69], v[46:49], off
	global_store_b128 v[72:73], v[42:45], off
	global_store_b128 v[58:59], v[38:41], off
	global_store_b128 v[60:61], v[34:37], off
	global_store_b128 v[64:65], v[30:33], off
	s_and_b32 exec_lo, exec_lo, s0
	s_cbranch_execz .LBB0_20
; %bb.19:
	v_subrev_nc_u32_e32 v26, 40, v70
	v_dual_mov_b32 v27, 0 :: v_dual_add_nc_u32 v66, 0x1b8, v70
	v_add_nc_u32_e32 v67, 0x218, v70
	v_add_nc_u32_e32 v68, 0x278, v70
	s_delay_alu instid0(VALU_DEP_4) | instskip(NEXT) | instid1(VALU_DEP_1)
	v_cndmask_b32_e64 v26, v26, v71, s0
	v_mul_i32_i24_e32 v26, 6, v26
	s_delay_alu instid0(VALU_DEP_1) | instskip(NEXT) | instid1(VALU_DEP_1)
	v_lshlrev_b64_e32 v[26:27], 4, v[26:27]
	v_add_co_u32 v46, vcc_lo, s8, v26
	s_wait_alu 0xfffd
	s_delay_alu instid0(VALU_DEP_2)
	v_add_co_ci_u32_e32 v47, vcc_lo, s9, v27, vcc_lo
	s_clause 0x5
	global_load_b128 v[26:29], v[46:47], off offset:1504
	global_load_b128 v[30:33], v[46:47], off offset:1520
	;; [unrolled: 1-line block ×6, first 2 shown]
	s_wait_loadcnt 0x5
	v_mul_f64_e32 v[54:55], v[12:13], v[28:29]
	v_mul_f64_e32 v[28:29], v[0:1], v[28:29]
	s_wait_loadcnt 0x4
	v_mul_f64_e32 v[56:57], v[14:15], v[32:33]
	v_mul_f64_e32 v[32:33], v[2:3], v[32:33]
	;; [unrolled: 3-line block ×6, first 2 shown]
	v_fma_f64 v[0:1], v[0:1], v[26:27], v[54:55]
	v_fma_f64 v[12:13], v[12:13], v[26:27], -v[28:29]
	v_fma_f64 v[2:3], v[2:3], v[30:31], v[56:57]
	v_fma_f64 v[14:15], v[14:15], v[30:31], -v[32:33]
	;; [unrolled: 2-line block ×6, first 2 shown]
	v_add_nc_u32_e32 v63, 0x98, v70
	v_add_nc_u32_e32 v64, 0xf8, v70
	;; [unrolled: 1-line block ×4, first 2 shown]
	v_add_f64_e32 v[26:27], v[0:1], v[10:11]
	v_add_f64_e32 v[28:29], v[12:13], v[22:23]
	;; [unrolled: 1-line block ×4, first 2 shown]
	v_add_f64_e64 v[2:3], v[2:3], -v[8:9]
	v_add_f64_e64 v[8:9], v[14:15], -v[20:21]
	v_add_f64_e32 v[14:15], v[4:5], v[6:7]
	v_add_f64_e32 v[20:21], v[16:17], v[18:19]
	v_add_f64_e64 v[4:5], v[6:7], -v[4:5]
	v_add_f64_e64 v[6:7], v[18:19], -v[16:17]
	;; [unrolled: 1-line block ×4, first 2 shown]
	v_add_f64_e32 v[0:1], v[30:31], v[26:27]
	v_add_f64_e32 v[16:17], v[32:33], v[28:29]
	v_add_f64_e64 v[18:19], v[26:27], -v[14:15]
	v_add_f64_e64 v[22:23], v[28:29], -v[20:21]
	;; [unrolled: 1-line block ×6, first 2 shown]
	v_add_f64_e32 v[44:45], v[4:5], v[2:3]
	v_add_f64_e32 v[8:9], v[6:7], v[8:9]
	v_add_f64_e64 v[4:5], v[10:11], -v[4:5]
	v_add_f64_e64 v[6:7], v[12:13], -v[6:7]
	;; [unrolled: 1-line block ×4, first 2 shown]
	v_add_f64_e32 v[42:43], v[14:15], v[0:1]
	v_add_f64_e32 v[16:17], v[20:21], v[16:17]
	v_add_f64_e64 v[14:15], v[14:15], -v[30:31]
	v_add_f64_e64 v[20:21], v[20:21], -v[32:33]
	v_mul_f64_e32 v[18:19], s[28:29], v[18:19]
	v_mul_f64_e32 v[22:23], s[28:29], v[22:23]
	v_mul_f64_e32 v[34:35], s[22:23], v[34:35]
	v_mul_f64_e32 v[36:37], s[22:23], v[36:37]
	v_mul_f64_e32 v[46:47], s[12:13], v[38:39]
	v_mul_f64_e32 v[48:49], s[12:13], v[40:41]
	v_add_f64_e32 v[10:11], v[44:45], v[10:11]
	v_add_f64_e32 v[8:9], v[8:9], v[12:13]
	;; [unrolled: 1-line block ×4, first 2 shown]
	v_mul_f64_e32 v[30:31], s[14:15], v[14:15]
	v_mul_f64_e32 v[32:33], s[14:15], v[20:21]
	v_fma_f64 v[12:13], v[14:15], s[14:15], v[18:19]
	v_fma_f64 v[14:15], v[20:21], s[14:15], v[22:23]
	;; [unrolled: 1-line block ×4, first 2 shown]
	v_fma_f64 v[34:35], v[38:39], s[12:13], -v[34:35]
	v_fma_f64 v[36:37], v[40:41], s[12:13], -v[36:37]
	;; [unrolled: 1-line block ×6, first 2 shown]
	v_mad_co_u64_u32 v[40:41], null, s6, v64, 0
	v_mad_co_u64_u32 v[46:47], null, s6, v66, 0
	;; [unrolled: 1-line block ×4, first 2 shown]
	v_fma_f64 v[38:39], v[42:43], s[16:17], v[0:1]
	v_fma_f64 v[16:17], v[16:17], s[16:17], v[2:3]
	v_fma_f64 v[26:27], v[26:27], s[26:27], -v[30:31]
	v_fma_f64 v[28:29], v[28:29], s[26:27], -v[32:33]
	v_mad_co_u64_u32 v[32:33], null, s6, v63, 0
	v_fma_f64 v[52:53], v[10:11], s[10:11], v[20:21]
	v_fma_f64 v[44:45], v[8:9], s[10:11], v[44:45]
	;; [unrolled: 1-line block ×6, first 2 shown]
	v_mad_co_u64_u32 v[42:43], null, s6, v65, 0
	v_mad_co_u64_u32 v[30:31], null, s6, v62, 0
	v_dual_mov_b32 v4, v33 :: v_dual_mov_b32 v5, v41
	v_dual_mov_b32 v7, v47 :: v_dual_mov_b32 v8, v49
	s_delay_alu instid0(VALU_DEP_4) | instskip(NEXT) | instid1(VALU_DEP_4)
	v_dual_mov_b32 v6, v43 :: v_dual_mov_b32 v9, v51
	v_mad_co_u64_u32 v[10:11], null, s7, v62, v[31:32]
	s_delay_alu instid0(VALU_DEP_1) | instskip(NEXT) | instid1(VALU_DEP_1)
	v_mov_b32_e32 v31, v10
	v_lshlrev_b64_e32 v[30:31], 4, v[30:31]
	v_add_f64_e32 v[56:57], v[12:13], v[38:39]
	v_add_f64_e32 v[58:59], v[14:15], v[16:17]
	v_add_f64_e32 v[60:61], v[18:19], v[38:39]
	v_add_f64_e32 v[22:23], v[22:23], v[16:17]
	v_add_f64_e32 v[18:19], v[26:27], v[38:39]
	v_add_f64_e32 v[26:27], v[28:29], v[16:17]
	v_mad_co_u64_u32 v[11:12], null, s7, v63, v[4:5]
	v_mad_co_u64_u32 v[4:5], null, s7, v64, v[5:6]
	;; [unrolled: 1-line block ×6, first 2 shown]
	v_mov_b32_e32 v41, v4
	v_mov_b32_e32 v43, v5
	;; [unrolled: 1-line block ×5, first 2 shown]
	v_lshlrev_b64_e32 v[38:39], 4, v[40:41]
	v_mov_b32_e32 v51, v8
	v_add_co_u32 v30, vcc_lo, v24, v30
	v_lshlrev_b64_e32 v[32:33], 4, v[32:33]
	s_wait_alu 0xfffd
	v_add_co_ci_u32_e32 v31, vcc_lo, v25, v31, vcc_lo
	v_lshlrev_b64_e32 v[40:41], 4, v[42:43]
	v_lshlrev_b64_e32 v[42:43], 4, v[50:51]
	s_delay_alu instid0(VALU_DEP_4)
	v_add_co_u32 v32, vcc_lo, v24, v32
	s_wait_alu 0xfffd
	v_add_co_ci_u32_e32 v33, vcc_lo, v25, v33, vcc_lo
	v_add_co_u32 v38, vcc_lo, v24, v38
	v_add_f64_e32 v[4:5], v[44:45], v[56:57]
	v_add_f64_e64 v[6:7], v[58:59], -v[52:53]
	v_add_f64_e32 v[8:9], v[54:55], v[60:61]
	v_add_f64_e64 v[10:11], v[22:23], -v[36:37]
	v_add_f64_e64 v[12:13], v[18:19], -v[34:35]
	v_add_f64_e32 v[14:15], v[20:21], v[26:27]
	v_add_f64_e32 v[16:17], v[34:35], v[18:19]
	v_add_f64_e64 v[18:19], v[26:27], -v[20:21]
	v_add_f64_e64 v[20:21], v[60:61], -v[54:55]
	v_add_f64_e32 v[22:23], v[36:37], v[22:23]
	v_add_f64_e64 v[26:27], v[56:57], -v[44:45]
	v_add_f64_e32 v[28:29], v[52:53], v[58:59]
	v_lshlrev_b64_e32 v[34:35], 4, v[46:47]
	s_wait_alu 0xfffd
	v_add_co_ci_u32_e32 v39, vcc_lo, v25, v39, vcc_lo
	v_lshlrev_b64_e32 v[36:37], 4, v[48:49]
	v_add_co_u32 v40, vcc_lo, v24, v40
	s_wait_alu 0xfffd
	v_add_co_ci_u32_e32 v41, vcc_lo, v25, v41, vcc_lo
	v_add_co_u32 v34, vcc_lo, v24, v34
	s_wait_alu 0xfffd
	v_add_co_ci_u32_e32 v35, vcc_lo, v25, v35, vcc_lo
	;; [unrolled: 3-line block ×4, first 2 shown]
	s_clause 0x6
	global_store_b128 v[30:31], v[0:3], off
	global_store_b128 v[32:33], v[4:7], off
	;; [unrolled: 1-line block ×7, first 2 shown]
.LBB0_20:
	s_nop 0
	s_sendmsg sendmsg(MSG_DEALLOC_VGPRS)
	s_endpgm
	.section	.rodata,"a",@progbits
	.p2align	6, 0x0
	.amdhsa_kernel fft_rtc_back_len672_factors_2_2_2_2_2_3_7_wgs_56_tpt_56_halfLds_dp_ip_CI_sbrr_dirReg
		.amdhsa_group_segment_fixed_size 0
		.amdhsa_private_segment_fixed_size 0
		.amdhsa_kernarg_size 88
		.amdhsa_user_sgpr_count 2
		.amdhsa_user_sgpr_dispatch_ptr 0
		.amdhsa_user_sgpr_queue_ptr 0
		.amdhsa_user_sgpr_kernarg_segment_ptr 1
		.amdhsa_user_sgpr_dispatch_id 0
		.amdhsa_user_sgpr_private_segment_size 0
		.amdhsa_wavefront_size32 1
		.amdhsa_uses_dynamic_stack 0
		.amdhsa_enable_private_segment 0
		.amdhsa_system_sgpr_workgroup_id_x 1
		.amdhsa_system_sgpr_workgroup_id_y 0
		.amdhsa_system_sgpr_workgroup_id_z 0
		.amdhsa_system_sgpr_workgroup_info 0
		.amdhsa_system_vgpr_workitem_id 0
		.amdhsa_next_free_vgpr 121
		.amdhsa_next_free_sgpr 35
		.amdhsa_reserve_vcc 1
		.amdhsa_float_round_mode_32 0
		.amdhsa_float_round_mode_16_64 0
		.amdhsa_float_denorm_mode_32 3
		.amdhsa_float_denorm_mode_16_64 3
		.amdhsa_fp16_overflow 0
		.amdhsa_workgroup_processor_mode 1
		.amdhsa_memory_ordered 1
		.amdhsa_forward_progress 0
		.amdhsa_round_robin_scheduling 0
		.amdhsa_exception_fp_ieee_invalid_op 0
		.amdhsa_exception_fp_denorm_src 0
		.amdhsa_exception_fp_ieee_div_zero 0
		.amdhsa_exception_fp_ieee_overflow 0
		.amdhsa_exception_fp_ieee_underflow 0
		.amdhsa_exception_fp_ieee_inexact 0
		.amdhsa_exception_int_div_zero 0
	.end_amdhsa_kernel
	.text
.Lfunc_end0:
	.size	fft_rtc_back_len672_factors_2_2_2_2_2_3_7_wgs_56_tpt_56_halfLds_dp_ip_CI_sbrr_dirReg, .Lfunc_end0-fft_rtc_back_len672_factors_2_2_2_2_2_3_7_wgs_56_tpt_56_halfLds_dp_ip_CI_sbrr_dirReg
                                        ; -- End function
	.section	.AMDGPU.csdata,"",@progbits
; Kernel info:
; codeLenInByte = 10532
; NumSgprs: 37
; NumVgprs: 121
; ScratchSize: 0
; MemoryBound: 1
; FloatMode: 240
; IeeeMode: 1
; LDSByteSize: 0 bytes/workgroup (compile time only)
; SGPRBlocks: 4
; VGPRBlocks: 15
; NumSGPRsForWavesPerEU: 37
; NumVGPRsForWavesPerEU: 121
; Occupancy: 10
; WaveLimiterHint : 1
; COMPUTE_PGM_RSRC2:SCRATCH_EN: 0
; COMPUTE_PGM_RSRC2:USER_SGPR: 2
; COMPUTE_PGM_RSRC2:TRAP_HANDLER: 0
; COMPUTE_PGM_RSRC2:TGID_X_EN: 1
; COMPUTE_PGM_RSRC2:TGID_Y_EN: 0
; COMPUTE_PGM_RSRC2:TGID_Z_EN: 0
; COMPUTE_PGM_RSRC2:TIDIG_COMP_CNT: 0
	.text
	.p2alignl 7, 3214868480
	.fill 96, 4, 3214868480
	.type	__hip_cuid_ce6896ce490dbad7,@object ; @__hip_cuid_ce6896ce490dbad7
	.section	.bss,"aw",@nobits
	.globl	__hip_cuid_ce6896ce490dbad7
__hip_cuid_ce6896ce490dbad7:
	.byte	0                               ; 0x0
	.size	__hip_cuid_ce6896ce490dbad7, 1

	.ident	"AMD clang version 19.0.0git (https://github.com/RadeonOpenCompute/llvm-project roc-6.4.0 25133 c7fe45cf4b819c5991fe208aaa96edf142730f1d)"
	.section	".note.GNU-stack","",@progbits
	.addrsig
	.addrsig_sym __hip_cuid_ce6896ce490dbad7
	.amdgpu_metadata
---
amdhsa.kernels:
  - .args:
      - .actual_access:  read_only
        .address_space:  global
        .offset:         0
        .size:           8
        .value_kind:     global_buffer
      - .offset:         8
        .size:           8
        .value_kind:     by_value
      - .actual_access:  read_only
        .address_space:  global
        .offset:         16
        .size:           8
        .value_kind:     global_buffer
      - .actual_access:  read_only
        .address_space:  global
        .offset:         24
        .size:           8
        .value_kind:     global_buffer
      - .offset:         32
        .size:           8
        .value_kind:     by_value
      - .actual_access:  read_only
        .address_space:  global
        .offset:         40
        .size:           8
        .value_kind:     global_buffer
      - .actual_access:  read_only
        .address_space:  global
        .offset:         48
        .size:           8
        .value_kind:     global_buffer
      - .offset:         56
        .size:           4
        .value_kind:     by_value
      - .actual_access:  read_only
        .address_space:  global
        .offset:         64
        .size:           8
        .value_kind:     global_buffer
      - .actual_access:  read_only
        .address_space:  global
        .offset:         72
        .size:           8
        .value_kind:     global_buffer
      - .address_space:  global
        .offset:         80
        .size:           8
        .value_kind:     global_buffer
    .group_segment_fixed_size: 0
    .kernarg_segment_align: 8
    .kernarg_segment_size: 88
    .language:       OpenCL C
    .language_version:
      - 2
      - 0
    .max_flat_workgroup_size: 56
    .name:           fft_rtc_back_len672_factors_2_2_2_2_2_3_7_wgs_56_tpt_56_halfLds_dp_ip_CI_sbrr_dirReg
    .private_segment_fixed_size: 0
    .sgpr_count:     37
    .sgpr_spill_count: 0
    .symbol:         fft_rtc_back_len672_factors_2_2_2_2_2_3_7_wgs_56_tpt_56_halfLds_dp_ip_CI_sbrr_dirReg.kd
    .uniform_work_group_size: 1
    .uses_dynamic_stack: false
    .vgpr_count:     121
    .vgpr_spill_count: 0
    .wavefront_size: 32
    .workgroup_processor_mode: 1
amdhsa.target:   amdgcn-amd-amdhsa--gfx1201
amdhsa.version:
  - 1
  - 2
...

	.end_amdgpu_metadata
